;; amdgpu-corpus repo=ROCm/rocFFT kind=compiled arch=gfx906 opt=O3
	.text
	.amdgcn_target "amdgcn-amd-amdhsa--gfx906"
	.amdhsa_code_object_version 6
	.protected	fft_rtc_back_len540_factors_3_10_6_3_wgs_216_tpt_54_halfLds_sp_op_CI_CI_unitstride_sbrr_R2C_dirReg ; -- Begin function fft_rtc_back_len540_factors_3_10_6_3_wgs_216_tpt_54_halfLds_sp_op_CI_CI_unitstride_sbrr_R2C_dirReg
	.globl	fft_rtc_back_len540_factors_3_10_6_3_wgs_216_tpt_54_halfLds_sp_op_CI_CI_unitstride_sbrr_R2C_dirReg
	.p2align	8
	.type	fft_rtc_back_len540_factors_3_10_6_3_wgs_216_tpt_54_halfLds_sp_op_CI_CI_unitstride_sbrr_R2C_dirReg,@function
fft_rtc_back_len540_factors_3_10_6_3_wgs_216_tpt_54_halfLds_sp_op_CI_CI_unitstride_sbrr_R2C_dirReg: ; @fft_rtc_back_len540_factors_3_10_6_3_wgs_216_tpt_54_halfLds_sp_op_CI_CI_unitstride_sbrr_R2C_dirReg
; %bb.0:
	s_load_dwordx4 s[8:11], s[4:5], 0x58
	s_load_dwordx4 s[12:15], s[4:5], 0x0
	;; [unrolled: 1-line block ×3, first 2 shown]
	v_mul_u32_u24_e32 v1, 0x4be, v0
	v_lshrrev_b32_e32 v7, 16, v1
	v_mov_b32_e32 v3, 0
	s_waitcnt lgkmcnt(0)
	v_cmp_lt_u64_e64 s[0:1], s[14:15], 2
	v_mov_b32_e32 v1, 0
	v_lshl_add_u32 v5, s6, 2, v7
	v_mov_b32_e32 v6, v3
	s_and_b64 vcc, exec, s[0:1]
	v_mov_b32_e32 v2, 0
	s_cbranch_vccnz .LBB0_8
; %bb.1:
	s_load_dwordx2 s[0:1], s[4:5], 0x10
	s_add_u32 s2, s18, 8
	s_addc_u32 s3, s19, 0
	s_add_u32 s6, s16, 8
	v_mov_b32_e32 v1, 0
	s_addc_u32 s7, s17, 0
	v_mov_b32_e32 v2, 0
	s_waitcnt lgkmcnt(0)
	s_add_u32 s20, s0, 8
	v_mov_b32_e32 v17, v2
	s_addc_u32 s21, s1, 0
	s_mov_b64 s[22:23], 1
	v_mov_b32_e32 v16, v1
.LBB0_2:                                ; =>This Inner Loop Header: Depth=1
	s_load_dwordx2 s[24:25], s[20:21], 0x0
                                        ; implicit-def: $vgpr18_vgpr19
	s_waitcnt lgkmcnt(0)
	v_or_b32_e32 v4, s25, v6
	v_cmp_ne_u64_e32 vcc, 0, v[3:4]
	s_and_saveexec_b64 s[0:1], vcc
	s_xor_b64 s[26:27], exec, s[0:1]
	s_cbranch_execz .LBB0_4
; %bb.3:                                ;   in Loop: Header=BB0_2 Depth=1
	v_cvt_f32_u32_e32 v4, s24
	v_cvt_f32_u32_e32 v8, s25
	s_sub_u32 s0, 0, s24
	s_subb_u32 s1, 0, s25
	v_mac_f32_e32 v4, 0x4f800000, v8
	v_rcp_f32_e32 v4, v4
	v_mul_f32_e32 v4, 0x5f7ffffc, v4
	v_mul_f32_e32 v8, 0x2f800000, v4
	v_trunc_f32_e32 v8, v8
	v_mac_f32_e32 v4, 0xcf800000, v8
	v_cvt_u32_f32_e32 v8, v8
	v_cvt_u32_f32_e32 v4, v4
	v_mul_lo_u32 v9, s0, v8
	v_mul_hi_u32 v10, s0, v4
	v_mul_lo_u32 v12, s1, v4
	v_mul_lo_u32 v11, s0, v4
	v_add_u32_e32 v9, v10, v9
	v_add_u32_e32 v9, v9, v12
	v_mul_hi_u32 v10, v4, v11
	v_mul_lo_u32 v12, v4, v9
	v_mul_hi_u32 v14, v4, v9
	v_mul_hi_u32 v13, v8, v11
	v_mul_lo_u32 v11, v8, v11
	v_mul_hi_u32 v15, v8, v9
	v_add_co_u32_e32 v10, vcc, v10, v12
	v_addc_co_u32_e32 v12, vcc, 0, v14, vcc
	v_mul_lo_u32 v9, v8, v9
	v_add_co_u32_e32 v10, vcc, v10, v11
	v_addc_co_u32_e32 v10, vcc, v12, v13, vcc
	v_addc_co_u32_e32 v11, vcc, 0, v15, vcc
	v_add_co_u32_e32 v9, vcc, v10, v9
	v_addc_co_u32_e32 v10, vcc, 0, v11, vcc
	v_add_co_u32_e32 v4, vcc, v4, v9
	v_addc_co_u32_e32 v8, vcc, v8, v10, vcc
	v_mul_lo_u32 v9, s0, v8
	v_mul_hi_u32 v10, s0, v4
	v_mul_lo_u32 v11, s1, v4
	v_mul_lo_u32 v12, s0, v4
	v_add_u32_e32 v9, v10, v9
	v_add_u32_e32 v9, v9, v11
	v_mul_lo_u32 v13, v4, v9
	v_mul_hi_u32 v14, v4, v12
	v_mul_hi_u32 v15, v4, v9
	;; [unrolled: 1-line block ×3, first 2 shown]
	v_mul_lo_u32 v12, v8, v12
	v_mul_hi_u32 v10, v8, v9
	v_add_co_u32_e32 v13, vcc, v14, v13
	v_addc_co_u32_e32 v14, vcc, 0, v15, vcc
	v_mul_lo_u32 v9, v8, v9
	v_add_co_u32_e32 v12, vcc, v13, v12
	v_addc_co_u32_e32 v11, vcc, v14, v11, vcc
	v_addc_co_u32_e32 v10, vcc, 0, v10, vcc
	v_add_co_u32_e32 v9, vcc, v11, v9
	v_addc_co_u32_e32 v10, vcc, 0, v10, vcc
	v_add_co_u32_e32 v4, vcc, v4, v9
	v_addc_co_u32_e32 v10, vcc, v8, v10, vcc
	v_mad_u64_u32 v[8:9], s[0:1], v5, v10, 0
	v_mul_hi_u32 v11, v5, v4
	v_add_co_u32_e32 v12, vcc, v11, v8
	v_addc_co_u32_e32 v13, vcc, 0, v9, vcc
	v_mad_u64_u32 v[8:9], s[0:1], v6, v4, 0
	v_mad_u64_u32 v[10:11], s[0:1], v6, v10, 0
	v_add_co_u32_e32 v4, vcc, v12, v8
	v_addc_co_u32_e32 v4, vcc, v13, v9, vcc
	v_addc_co_u32_e32 v8, vcc, 0, v11, vcc
	v_add_co_u32_e32 v4, vcc, v4, v10
	v_addc_co_u32_e32 v10, vcc, 0, v8, vcc
	v_mul_lo_u32 v11, s25, v4
	v_mul_lo_u32 v12, s24, v10
	v_mad_u64_u32 v[8:9], s[0:1], s24, v4, 0
	v_add3_u32 v9, v9, v12, v11
	v_sub_u32_e32 v11, v6, v9
	v_mov_b32_e32 v12, s25
	v_sub_co_u32_e32 v8, vcc, v5, v8
	v_subb_co_u32_e64 v11, s[0:1], v11, v12, vcc
	v_subrev_co_u32_e64 v12, s[0:1], s24, v8
	v_subbrev_co_u32_e64 v11, s[0:1], 0, v11, s[0:1]
	v_cmp_le_u32_e64 s[0:1], s25, v11
	v_cndmask_b32_e64 v13, 0, -1, s[0:1]
	v_cmp_le_u32_e64 s[0:1], s24, v12
	v_cndmask_b32_e64 v12, 0, -1, s[0:1]
	v_cmp_eq_u32_e64 s[0:1], s25, v11
	v_cndmask_b32_e64 v11, v13, v12, s[0:1]
	v_add_co_u32_e64 v12, s[0:1], 2, v4
	v_addc_co_u32_e64 v13, s[0:1], 0, v10, s[0:1]
	v_add_co_u32_e64 v14, s[0:1], 1, v4
	v_addc_co_u32_e64 v15, s[0:1], 0, v10, s[0:1]
	v_subb_co_u32_e32 v9, vcc, v6, v9, vcc
	v_cmp_ne_u32_e64 s[0:1], 0, v11
	v_cmp_le_u32_e32 vcc, s25, v9
	v_cndmask_b32_e64 v11, v15, v13, s[0:1]
	v_cndmask_b32_e64 v13, 0, -1, vcc
	v_cmp_le_u32_e32 vcc, s24, v8
	v_cndmask_b32_e64 v8, 0, -1, vcc
	v_cmp_eq_u32_e32 vcc, s25, v9
	v_cndmask_b32_e32 v8, v13, v8, vcc
	v_cmp_ne_u32_e32 vcc, 0, v8
	v_cndmask_b32_e64 v8, v14, v12, s[0:1]
	v_cndmask_b32_e32 v19, v10, v11, vcc
	v_cndmask_b32_e32 v18, v4, v8, vcc
.LBB0_4:                                ;   in Loop: Header=BB0_2 Depth=1
	s_andn2_saveexec_b64 s[0:1], s[26:27]
	s_cbranch_execz .LBB0_6
; %bb.5:                                ;   in Loop: Header=BB0_2 Depth=1
	v_cvt_f32_u32_e32 v4, s24
	s_sub_i32 s26, 0, s24
	v_mov_b32_e32 v19, v3
	v_rcp_iflag_f32_e32 v4, v4
	v_mul_f32_e32 v4, 0x4f7ffffe, v4
	v_cvt_u32_f32_e32 v4, v4
	v_mul_lo_u32 v8, s26, v4
	v_mul_hi_u32 v8, v4, v8
	v_add_u32_e32 v4, v4, v8
	v_mul_hi_u32 v4, v5, v4
	v_mul_lo_u32 v8, v4, s24
	v_add_u32_e32 v9, 1, v4
	v_sub_u32_e32 v8, v5, v8
	v_subrev_u32_e32 v10, s24, v8
	v_cmp_le_u32_e32 vcc, s24, v8
	v_cndmask_b32_e32 v8, v8, v10, vcc
	v_cndmask_b32_e32 v4, v4, v9, vcc
	v_add_u32_e32 v9, 1, v4
	v_cmp_le_u32_e32 vcc, s24, v8
	v_cndmask_b32_e32 v18, v4, v9, vcc
.LBB0_6:                                ;   in Loop: Header=BB0_2 Depth=1
	s_or_b64 exec, exec, s[0:1]
	v_mul_lo_u32 v4, v19, s24
	v_mul_lo_u32 v10, v18, s25
	v_mad_u64_u32 v[8:9], s[0:1], v18, s24, 0
	s_load_dwordx2 s[0:1], s[6:7], 0x0
	s_load_dwordx2 s[24:25], s[2:3], 0x0
	v_add3_u32 v4, v9, v10, v4
	v_sub_co_u32_e32 v5, vcc, v5, v8
	v_subb_co_u32_e32 v4, vcc, v6, v4, vcc
	s_waitcnt lgkmcnt(0)
	v_mul_lo_u32 v6, s0, v4
	v_mul_lo_u32 v8, s1, v5
	v_mad_u64_u32 v[1:2], s[0:1], s0, v5, v[1:2]
	v_mul_lo_u32 v4, s24, v4
	v_mul_lo_u32 v9, s25, v5
	v_mad_u64_u32 v[16:17], s[0:1], s24, v5, v[16:17]
	s_add_u32 s22, s22, 1
	s_addc_u32 s23, s23, 0
	s_add_u32 s2, s2, 8
	v_add3_u32 v17, v9, v17, v4
	s_addc_u32 s3, s3, 0
	v_mov_b32_e32 v4, s14
	s_add_u32 s6, s6, 8
	v_mov_b32_e32 v5, s15
	s_addc_u32 s7, s7, 0
	v_cmp_ge_u64_e32 vcc, s[22:23], v[4:5]
	s_add_u32 s20, s20, 8
	v_add3_u32 v2, v8, v2, v6
	s_addc_u32 s21, s21, 0
	s_cbranch_vccnz .LBB0_9
; %bb.7:                                ;   in Loop: Header=BB0_2 Depth=1
	v_mov_b32_e32 v5, v18
	v_mov_b32_e32 v6, v19
	s_branch .LBB0_2
.LBB0_8:
	v_mov_b32_e32 v17, v2
	v_mov_b32_e32 v19, v6
	;; [unrolled: 1-line block ×4, first 2 shown]
.LBB0_9:
	s_load_dwordx2 s[0:1], s[4:5], 0x28
	s_lshl_b64 s[6:7], s[14:15], 3
	s_add_u32 s2, s18, s6
	s_addc_u32 s3, s19, s7
	v_and_b32_e32 v3, 3, v7
	s_waitcnt lgkmcnt(0)
	v_cmp_gt_u64_e32 vcc, s[0:1], v[18:19]
	v_cmp_le_u64_e64 s[0:1], s[0:1], v[18:19]
                                        ; implicit-def: $vgpr20
                                        ; implicit-def: $vgpr22
                                        ; implicit-def: $vgpr26
                                        ; implicit-def: $vgpr24
	s_and_saveexec_b64 s[4:5], s[0:1]
	s_xor_b64 s[0:1], exec, s[4:5]
; %bb.10:
	s_mov_b32 s4, 0x4bda130
	v_mul_hi_u32 v1, v0, s4
	v_mul_u32_u24_e32 v1, 54, v1
	v_sub_u32_e32 v20, v0, v1
	v_add_u32_e32 v22, 54, v20
	v_add_u32_e32 v26, 0x6c, v20
	;; [unrolled: 1-line block ×3, first 2 shown]
                                        ; implicit-def: $vgpr0
                                        ; implicit-def: $vgpr1_vgpr2
; %bb.11:
	s_or_saveexec_b64 s[4:5], s[0:1]
	v_mul_u32_u24_e32 v3, 0x21d, v3
	v_lshlrev_b32_e32 v25, 3, v3
	s_xor_b64 exec, exec, s[4:5]
	s_cbranch_execz .LBB0_13
; %bb.12:
	s_add_u32 s0, s16, s6
	s_addc_u32 s1, s17, s7
	s_load_dwordx2 s[0:1], s[0:1], 0x0
	s_mov_b32 s6, 0x4bda130
	v_mul_hi_u32 v5, v0, s6
	s_waitcnt lgkmcnt(0)
	v_mul_lo_u32 v6, s1, v18
	v_mul_lo_u32 v7, s0, v19
	v_mad_u64_u32 v[3:4], s[0:1], s0, v18, 0
	v_mul_u32_u24_e32 v5, 54, v5
	v_sub_u32_e32 v20, v0, v5
	v_add3_u32 v4, v4, v7, v6
	v_lshlrev_b64 v[3:4], 3, v[3:4]
	v_mov_b32_e32 v0, s9
	v_add_co_u32_e64 v3, s[0:1], s8, v3
	v_addc_co_u32_e64 v4, s[0:1], v0, v4, s[0:1]
	v_lshlrev_b64 v[0:1], 3, v[1:2]
	v_lshlrev_b32_e32 v21, 3, v20
	v_add_co_u32_e64 v0, s[0:1], v3, v0
	v_addc_co_u32_e64 v1, s[0:1], v4, v1, s[0:1]
	v_add_co_u32_e64 v0, s[0:1], v0, v21
	v_addc_co_u32_e64 v1, s[0:1], 0, v1, s[0:1]
	global_load_dwordx2 v[2:3], v[0:1], off offset:1728
	global_load_dwordx2 v[4:5], v[0:1], off offset:2160
	;; [unrolled: 1-line block ×4, first 2 shown]
	global_load_dwordx2 v[10:11], v[0:1], off
	global_load_dwordx2 v[12:13], v[0:1], off offset:432
	global_load_dwordx2 v[14:15], v[0:1], off offset:864
	;; [unrolled: 1-line block ×5, first 2 shown]
	v_add3_u32 v0, 0, v25, v21
	v_add_u32_e32 v22, 54, v20
	v_add_u32_e32 v26, 0x6c, v20
	;; [unrolled: 1-line block ×5, first 2 shown]
	s_waitcnt vmcnt(8)
	ds_write2_b64 v1, v[2:3], v[4:5] offset0:88 offset1:142
	s_waitcnt vmcnt(4)
	ds_write2_b64 v0, v[10:11], v[12:13] offset1:54
	s_waitcnt vmcnt(2)
	ds_write2_b64 v0, v[14:15], v[27:28] offset0:108 offset1:162
	ds_write2_b64 v21, v[6:7], v[8:9] offset0:68 offset1:122
	s_waitcnt vmcnt(0)
	ds_write2_b64 v21, v[29:30], v[31:32] offset0:176 offset1:230
.LBB0_13:
	s_or_b64 exec, exec, s[4:5]
	v_lshlrev_b32_e32 v21, 3, v20
	v_add3_u32 v23, 0, v21, v25
	v_add_u32_e32 v11, 0x400, v23
	s_load_dwordx2 s[6:7], s[2:3], 0x0
	s_waitcnt lgkmcnt(0)
	s_barrier
	ds_read2_b64 v[12:15], v23 offset0:54 offset1:108
	ds_read2_b64 v[0:3], v11 offset0:106 offset1:160
	v_add_u32_e32 v10, 0x800, v23
	ds_read2_b64 v[6:9], v10 offset0:158 offset1:212
	v_add_u32_e32 v37, 0, v25
	v_add_u32_e32 v38, v37, v21
	s_waitcnt lgkmcnt(1)
	v_add_f32_e32 v4, v12, v0
	v_add_f32_e32 v5, v13, v1
	s_waitcnt lgkmcnt(0)
	v_add_f32_e32 v39, v0, v6
	v_sub_f32_e32 v40, v1, v7
	v_add_f32_e32 v41, v1, v7
	v_sub_f32_e32 v42, v0, v6
	v_add_f32_e32 v31, v14, v2
	v_add_f32_e32 v43, v2, v8
	v_sub_f32_e32 v44, v3, v9
	v_add_f32_e32 v32, v15, v3
	;; [unrolled: 3-line block ×3, first 2 shown]
	v_add_f32_e32 v28, v5, v7
	ds_read2_b64 v[0:3], v23 offset0:162 offset1:180
	ds_read_b64 v[29:30], v38
	ds_read2_b64 v[4:7], v10 offset0:86 offset1:104
	v_add_f32_e32 v31, v31, v8
	v_add_f32_e32 v32, v32, v9
	ds_read_b64 v[8:9], v23 offset:4176
	s_waitcnt lgkmcnt(2)
	v_add_f32_e32 v33, v29, v2
	s_waitcnt lgkmcnt(1)
	v_add_f32_e32 v34, v2, v6
	v_add_f32_e32 v35, v3, v7
	v_fma_f32 v29, -0.5, v34, v29
	v_add_f32_e32 v34, v30, v3
	v_fmac_f32_e32 v30, -0.5, v35
	v_sub_f32_e32 v3, v3, v7
	v_mov_b32_e32 v35, v29
	v_mov_b32_e32 v36, v30
	v_sub_f32_e32 v2, v2, v6
	v_add_f32_e32 v33, v33, v6
	v_add_f32_e32 v34, v34, v7
	v_fmac_f32_e32 v35, 0xbf5db3d7, v3
	v_fmac_f32_e32 v36, 0x3f5db3d7, v2
	v_lshl_add_u32 v6, v20, 4, v23
	v_fmac_f32_e32 v29, 0x3f5db3d7, v3
	v_fmac_f32_e32 v30, 0xbf5db3d7, v2
	v_fma_f32 v2, -0.5, v39, v12
	v_fma_f32 v3, -0.5, v41, v13
	s_waitcnt lgkmcnt(0)
	s_barrier
	ds_write2_b64 v6, v[33:34], v[35:36] offset1:1
	ds_write_b64 v6, v[29:30] offset:16
	v_mov_b32_e32 v12, v2
	v_mov_b32_e32 v13, v3
	v_mad_i32_i24 v6, v22, 24, 0
	v_fmac_f32_e32 v12, 0xbf5db3d7, v40
	v_fmac_f32_e32 v13, 0x3f5db3d7, v42
	v_add_u32_e32 v7, v6, v25
	v_fmac_f32_e32 v2, 0x3f5db3d7, v40
	v_fmac_f32_e32 v3, 0xbf5db3d7, v42
	v_fma_f32 v14, -0.5, v43, v14
	v_fmac_f32_e32 v15, -0.5, v45
	ds_write2_b64 v7, v[27:28], v[12:13] offset1:1
	ds_write_b64 v7, v[2:3] offset:16
	v_mov_b32_e32 v2, v14
	v_mov_b32_e32 v3, v15
	v_mad_i32_i24 v7, v26, 24, 0
	v_fmac_f32_e32 v2, 0xbf5db3d7, v44
	v_fmac_f32_e32 v3, 0x3f5db3d7, v46
	v_add_u32_e32 v12, v7, v25
	ds_write2_b64 v12, v[31:32], v[2:3] offset1:1
	v_add_f32_e32 v2, v4, v8
	v_fma_f32 v27, -0.5, v2, v0
	v_sub_f32_e32 v3, v5, v9
	v_mov_b32_e32 v2, v27
	v_fmac_f32_e32 v2, 0xbf5db3d7, v3
	v_fmac_f32_e32 v27, 0x3f5db3d7, v3
	v_add_f32_e32 v3, v5, v9
	v_fmac_f32_e32 v14, 0x3f5db3d7, v44
	v_fmac_f32_e32 v15, 0xbf5db3d7, v46
	v_fma_f32 v28, -0.5, v3, v1
	ds_write_b64 v12, v[14:15] offset:16
	v_mov_b32_e32 v3, v28
	v_sub_f32_e32 v12, v4, v8
	v_fmac_f32_e32 v3, 0x3f5db3d7, v12
	v_fmac_f32_e32 v28, 0xbf5db3d7, v12
	v_cmp_gt_u32_e64 s[0:1], 18, v20
	s_and_saveexec_b64 s[2:3], s[0:1]
	s_cbranch_execz .LBB0_15
; %bb.14:
	v_add_f32_e32 v1, v1, v5
	v_add_f32_e32 v0, v0, v4
	v_mul_i32_i24_e32 v4, 24, v24
	v_add_f32_e32 v1, v1, v9
	v_add_f32_e32 v0, v0, v8
	v_add3_u32 v4, 0, v4, v25
	ds_write2_b64 v4, v[0:1], v[2:3] offset1:1
	ds_write_b64 v4, v[27:28] offset:16
.LBB0_15:
	s_or_b64 exec, exec, s[2:3]
	s_movk_i32 s2, 0xab
	v_mul_lo_u16_sdwa v0, v20, s2 dst_sel:DWORD dst_unused:UNUSED_PAD src0_sel:BYTE_0 src1_sel:DWORD
	v_lshrrev_b16_e32 v9, 9, v0
	v_mul_lo_u16_e32 v0, 3, v9
	v_sub_u16_e32 v8, v20, v0
	v_mov_b32_e32 v0, 9
	v_mul_u32_u24_sdwa v0, v8, v0 dst_sel:DWORD dst_unused:UNUSED_PAD src0_sel:BYTE_0 src1_sel:DWORD
	v_lshlrev_b32_e32 v0, 3, v0
	s_waitcnt lgkmcnt(0)
	s_barrier
	global_load_dwordx4 v[12:15], v0, s[12:13]
	global_load_dwordx4 v[29:32], v0, s[12:13] offset:16
	global_load_dwordx4 v[41:44], v0, s[12:13] offset:32
	global_load_dwordx4 v[45:48], v0, s[12:13] offset:48
	global_load_dwordx2 v[33:34], v0, s[12:13] offset:64
	v_lshlrev_b32_e32 v1, 4, v26
	v_lshlrev_b32_e32 v0, 4, v22
	v_sub_u32_e32 v7, v7, v1
	v_sub_u32_e32 v0, v6, v0
	v_add_u32_e32 v39, v7, v25
	ds_read2_b64 v[49:52], v11 offset0:88 offset1:142
	ds_read2_b64 v[53:56], v10 offset0:68 offset1:122
	v_add_u32_e32 v40, v0, v25
	ds_read_b64 v[0:1], v38
	ds_read_b64 v[5:6], v40
	;; [unrolled: 1-line block ×3, first 2 shown]
	v_lshlrev_b32_e32 v4, 3, v24
	v_add3_u32 v35, 0, v4, v25
	ds_read_b64 v[59:60], v35
	s_movk_i32 s2, 0xf0
	v_mad_u32_u24 v9, v9, s2, 0
	v_cmp_gt_u32_e64 s[2:3], 36, v20
	s_waitcnt vmcnt(4) lgkmcnt(2)
	v_mul_f32_e32 v4, v13, v6
	v_mul_f32_e32 v7, v13, v5
	s_waitcnt lgkmcnt(1)
	v_mul_f32_e32 v36, v15, v58
	v_mul_f32_e32 v11, v15, v57
	v_fmac_f32_e32 v4, v12, v5
	v_fma_f32 v5, v12, v6, -v7
	v_fmac_f32_e32 v36, v14, v57
	v_fma_f32 v6, v14, v58, -v11
	ds_read2_b64 v[11:14], v10 offset0:176 offset1:230
	s_waitcnt vmcnt(3) lgkmcnt(1)
	v_mul_f32_e32 v7, v30, v60
	v_mul_f32_e32 v15, v30, v59
	;; [unrolled: 1-line block ×3, first 2 shown]
	s_waitcnt vmcnt(2)
	v_mul_f32_e32 v57, v42, v52
	v_fmac_f32_e32 v7, v29, v59
	v_fma_f32 v15, v29, v60, -v15
	v_mul_f32_e32 v29, v42, v51
	v_mul_f32_e32 v32, v32, v49
	v_fmac_f32_e32 v30, v31, v49
	s_waitcnt vmcnt(1) lgkmcnt(0)
	v_mul_f32_e32 v49, v12, v48
	v_fmac_f32_e32 v57, v41, v51
	v_fma_f32 v29, v41, v52, -v29
	v_mul_f32_e32 v41, v11, v48
	s_waitcnt vmcnt(0)
	v_mul_f32_e32 v48, v14, v34
	v_mul_f32_e32 v42, v54, v44
	;; [unrolled: 1-line block ×3, first 2 shown]
	v_fmac_f32_e32 v48, v13, v33
	v_add_f32_e32 v13, v0, v36
	v_fma_f32 v31, v31, v50, -v32
	v_mul_f32_e32 v32, v53, v44
	v_mul_f32_e32 v44, v56, v46
	;; [unrolled: 1-line block ×3, first 2 shown]
	v_fmac_f32_e32 v42, v53, v43
	v_fmac_f32_e32 v49, v11, v47
	v_add_f32_e32 v13, v13, v30
	v_fma_f32 v32, v54, v43, -v32
	v_fmac_f32_e32 v44, v55, v45
	v_fma_f32 v43, v56, v45, -v46
	v_fma_f32 v11, v12, v47, -v41
	v_fma_f32 v12, v14, v33, -v34
	v_add_f32_e32 v14, v30, v42
	v_sub_f32_e32 v41, v36, v30
	v_sub_f32_e32 v45, v49, v42
	;; [unrolled: 1-line block ×4, first 2 shown]
	v_add_f32_e32 v13, v13, v42
	v_fma_f32 v51, -0.5, v14, v0
	v_add_f32_e32 v14, v41, v45
	v_add_f32_e32 v41, v47, v50
	v_add_f32_e32 v47, v13, v49
	v_add_f32_e32 v13, v1, v6
	v_add_f32_e32 v13, v13, v31
	v_add_f32_e32 v46, v36, v49
	v_add_f32_e32 v13, v13, v32
	v_sub_f32_e32 v33, v6, v11
	v_fma_f32 v0, -0.5, v46, v0
	v_mov_b32_e32 v45, v51
	v_add_f32_e32 v50, v13, v11
	v_add_f32_e32 v13, v31, v32
	v_sub_f32_e32 v34, v31, v32
	v_fmac_f32_e32 v51, 0x3f737871, v33
	v_mov_b32_e32 v46, v0
	v_fmac_f32_e32 v45, 0xbf737871, v33
	v_fma_f32 v52, -0.5, v13, v1
	v_fmac_f32_e32 v0, 0xbf737871, v34
	v_fmac_f32_e32 v51, 0x3f167918, v34
	;; [unrolled: 1-line block ×4, first 2 shown]
	v_sub_f32_e32 v13, v36, v49
	v_mov_b32_e32 v36, v52
	v_fmac_f32_e32 v51, 0x3e9e377a, v14
	v_fmac_f32_e32 v46, 0xbf167918, v33
	;; [unrolled: 1-line block ×5, first 2 shown]
	v_sub_f32_e32 v14, v30, v42
	v_sub_f32_e32 v30, v6, v31
	v_sub_f32_e32 v33, v11, v32
	v_fmac_f32_e32 v52, 0xbf737871, v13
	v_fmac_f32_e32 v36, 0x3f167918, v14
	v_add_f32_e32 v30, v30, v33
	v_fmac_f32_e32 v52, 0xbf167918, v14
	v_fmac_f32_e32 v36, 0x3e9e377a, v30
	;; [unrolled: 1-line block ×3, first 2 shown]
	v_add_f32_e32 v30, v6, v11
	v_sub_f32_e32 v6, v31, v6
	v_sub_f32_e32 v11, v32, v11
	v_fmac_f32_e32 v1, -0.5, v30
	v_add_f32_e32 v6, v6, v11
	v_add_f32_e32 v11, v57, v44
	v_mov_b32_e32 v49, v1
	v_fma_f32 v30, -0.5, v11, v4
	v_fmac_f32_e32 v49, 0xbf737871, v14
	v_fmac_f32_e32 v1, 0x3f737871, v14
	v_sub_f32_e32 v11, v15, v12
	v_mov_b32_e32 v14, v30
	v_fmac_f32_e32 v49, 0x3f167918, v13
	v_fmac_f32_e32 v1, 0xbf167918, v13
	v_fmac_f32_e32 v14, 0xbf737871, v11
	v_sub_f32_e32 v13, v29, v43
	v_sub_f32_e32 v31, v7, v57
	;; [unrolled: 1-line block ×3, first 2 shown]
	v_fmac_f32_e32 v30, 0x3f737871, v11
	v_fmac_f32_e32 v14, 0xbf167918, v13
	v_add_f32_e32 v31, v31, v32
	v_fmac_f32_e32 v30, 0x3f167918, v13
	v_fmac_f32_e32 v14, 0x3e9e377a, v31
	;; [unrolled: 1-line block ×3, first 2 shown]
	v_add_f32_e32 v31, v7, v48
	v_fmac_f32_e32 v49, 0x3e9e377a, v6
	v_fmac_f32_e32 v1, 0x3e9e377a, v6
	v_add_f32_e32 v6, v4, v7
	v_fmac_f32_e32 v4, -0.5, v31
	v_mov_b32_e32 v32, v4
	v_fmac_f32_e32 v32, 0x3f737871, v13
	v_fmac_f32_e32 v4, 0xbf737871, v13
	;; [unrolled: 1-line block ×4, first 2 shown]
	v_add_f32_e32 v11, v5, v15
	v_add_f32_e32 v11, v11, v29
	;; [unrolled: 1-line block ×5, first 2 shown]
	v_sub_f32_e32 v31, v57, v7
	v_sub_f32_e32 v33, v44, v48
	v_fma_f32 v42, -0.5, v11, v5
	v_add_f32_e32 v31, v31, v33
	v_sub_f32_e32 v7, v7, v48
	v_mov_b32_e32 v34, v42
	v_fmac_f32_e32 v32, 0x3e9e377a, v31
	v_fmac_f32_e32 v4, 0x3e9e377a, v31
	v_fmac_f32_e32 v34, 0x3f737871, v7
	v_sub_f32_e32 v11, v57, v44
	v_sub_f32_e32 v13, v15, v29
	;; [unrolled: 1-line block ×3, first 2 shown]
	v_fmac_f32_e32 v42, 0xbf737871, v7
	v_fmac_f32_e32 v34, 0x3f167918, v11
	v_add_f32_e32 v13, v13, v31
	v_fmac_f32_e32 v42, 0xbf167918, v11
	v_fmac_f32_e32 v34, 0x3e9e377a, v13
	;; [unrolled: 1-line block ×3, first 2 shown]
	v_add_f32_e32 v13, v15, v12
	v_add_f32_e32 v6, v6, v57
	v_fmac_f32_e32 v5, -0.5, v13
	v_add_f32_e32 v6, v6, v44
	v_mov_b32_e32 v44, v5
	v_fmac_f32_e32 v44, 0xbf737871, v11
	v_sub_f32_e32 v13, v29, v15
	v_sub_f32_e32 v12, v43, v12
	v_fmac_f32_e32 v44, 0x3f167918, v7
	v_add_f32_e32 v12, v13, v12
	v_fmac_f32_e32 v5, 0x3f737871, v11
	v_fmac_f32_e32 v44, 0x3e9e377a, v12
	;; [unrolled: 1-line block ×4, first 2 shown]
	v_mul_f32_e32 v15, 0xbf737871, v44
	v_fmac_f32_e32 v46, 0x3e9e377a, v41
	v_add_f32_e32 v6, v6, v48
	v_fmac_f32_e32 v15, 0x3e9e377a, v32
	v_mul_f32_e32 v48, 0xbf737871, v5
	v_mul_f32_e32 v57, 0xbe9e377a, v5
	;; [unrolled: 1-line block ×3, first 2 shown]
	v_add_f32_e32 v31, v46, v15
	v_fmac_f32_e32 v48, 0xbe9e377a, v4
	v_mul_f32_e32 v55, 0x3f4f1bbd, v34
	v_mul_f32_e32 v56, 0x3e9e377a, v44
	v_fmac_f32_e32 v57, 0x3f737871, v4
	v_sub_f32_e32 v4, v46, v15
	v_mov_b32_e32 v15, 3
	v_fmac_f32_e32 v0, 0x3e9e377a, v41
	v_fmac_f32_e32 v7, 0x3f4f1bbd, v14
	v_mul_f32_e32 v54, 0xbf167918, v42
	v_fmac_f32_e32 v55, 0x3f167918, v14
	v_fmac_f32_e32 v56, 0x3f737871, v32
	v_mul_f32_e32 v58, 0xbf4f1bbd, v42
	v_lshlrev_b32_sdwa v8, v15, v8 dst_sel:DWORD dst_unused:UNUSED_PAD src0_sel:DWORD src1_sel:BYTE_0
	v_add_f32_e32 v11, v47, v6
	v_add_f32_e32 v13, v45, v7
	v_add_f32_e32 v33, v0, v48
	v_fmac_f32_e32 v54, 0xbf4f1bbd, v30
	v_add_f32_e32 v12, v50, v53
	v_add_f32_e32 v14, v36, v55
	;; [unrolled: 1-line block ×4, first 2 shown]
	v_fmac_f32_e32 v58, 0x3f167918, v30
	v_add3_u32 v8, v9, v8, v25
	v_add_f32_e32 v41, v51, v54
	v_add_f32_e32 v42, v52, v58
	v_sub_f32_e32 v43, v47, v6
	v_sub_f32_e32 v29, v45, v7
	;; [unrolled: 1-line block ×9, first 2 shown]
	s_barrier
	ds_write2_b64 v8, v[11:12], v[13:14] offset1:3
	ds_write2_b64 v8, v[31:32], v[33:34] offset0:6 offset1:9
	ds_write2_b64 v8, v[41:42], v[43:44] offset0:12 offset1:15
	;; [unrolled: 1-line block ×4, first 2 shown]
	s_waitcnt lgkmcnt(0)
	s_barrier
	ds_read2_b64 v[12:15], v23 offset0:90 offset1:180
	ds_read2_b64 v[8:11], v10 offset0:14 offset1:104
	ds_read_b64 v[31:32], v38
	ds_read_b64 v[33:34], v23 offset:3600
	s_and_saveexec_b64 s[4:5], s[2:3]
	s_cbranch_execz .LBB0_17
; %bb.16:
	v_add_u32_e32 v0, 0x800, v23
	ds_read2_b64 v[4:7], v23 offset0:144 offset1:234
	ds_read2_b64 v[0:3], v0 offset0:68 offset1:158
	ds_read_b64 v[29:30], v40
	ds_read_b64 v[27:28], v23 offset:4032
.LBB0_17:
	s_or_b64 exec, exec, s[4:5]
	v_subrev_u32_e32 v36, 30, v20
	v_cmp_gt_u32_e64 s[4:5], 30, v20
	v_cndmask_b32_e64 v36, v36, v20, s[4:5]
	v_mul_i32_i24_e32 v41, 5, v36
	v_mov_b32_e32 v42, 0
	v_lshlrev_b64 v[41:42], 3, v[41:42]
	v_lshlrev_b32_e32 v36, 3, v36
	v_add_co_u32_e64 v49, s[4:5], s12, v41
	v_mov_b32_e32 v41, s13
	v_addc_co_u32_e64 v50, s[4:5], v41, v42, s[4:5]
	global_load_dwordx2 v[51:52], v[49:50], off offset:248
	global_load_dwordx4 v[41:44], v[49:50], off offset:232
	global_load_dwordx4 v[45:48], v[49:50], off offset:216
	s_movk_i32 s4, 0x89
	s_movk_i32 s8, 0x5a0
	s_waitcnt vmcnt(2) lgkmcnt(0)
	v_mul_f32_e32 v55, v52, v34
	v_fmac_f32_e32 v55, v51, v33
	s_waitcnt vmcnt(0)
	v_mul_f32_e32 v49, v46, v13
	v_fmac_f32_e32 v49, v45, v12
	v_mul_f32_e32 v12, v46, v12
	v_fma_f32 v45, v45, v13, -v12
	v_mul_f32_e32 v46, v48, v15
	v_mul_f32_e32 v12, v48, v14
	v_mul_f32_e32 v48, v42, v9
	v_fmac_f32_e32 v48, v41, v8
	v_mul_f32_e32 v8, v42, v8
	v_fma_f32 v50, v41, v9, -v8
	v_mul_f32_e32 v8, v44, v10
	v_fma_f32 v54, v43, v11, -v8
	;; [unrolled: 2-line block ×3, first 2 shown]
	v_mul_lo_u16_sdwa v8, v22, s4 dst_sel:DWORD dst_unused:UNUSED_PAD src0_sel:BYTE_0 src1_sel:DWORD
	v_lshrrev_b16_e32 v8, 12, v8
	v_mul_f32_e32 v53, v44, v11
	v_mul_lo_u16_e32 v9, 30, v8
	v_fmac_f32_e32 v53, v43, v10
	v_sub_u16_e32 v9, v22, v9
	v_mov_b32_e32 v10, 5
	v_mul_u32_u24_sdwa v10, v9, v10 dst_sel:DWORD dst_unused:UNUSED_PAD src0_sel:BYTE_0 src1_sel:DWORD
	v_lshlrev_b32_e32 v34, 3, v10
	v_fmac_f32_e32 v46, v47, v14
	v_fma_f32 v47, v47, v15, -v12
	global_load_dwordx2 v[14:15], v34, s[12:13] offset:248
	global_load_dwordx4 v[10:13], v34, s[12:13] offset:232
	global_load_dwordx4 v[41:44], v34, s[12:13] offset:216
	v_cmp_lt_u32_e64 s[4:5], 29, v20
	s_waitcnt vmcnt(0)
	s_barrier
	v_mul_f32_e32 v57, v1, v11
	v_mul_f32_e32 v51, v5, v42
	v_fmac_f32_e32 v51, v4, v41
	v_mul_f32_e32 v4, v4, v42
	v_fma_f32 v52, v5, v41, -v4
	v_fmac_f32_e32 v57, v0, v10
	v_mul_f32_e32 v0, v0, v11
	v_add_f32_e32 v5, v46, v53
	v_mul_f32_e32 v56, v7, v44
	v_fma_f32 v0, v1, v10, -v0
	v_mul_f32_e32 v1, v3, v13
	v_fma_f32 v5, -0.5, v5, v31
	v_fmac_f32_e32 v56, v6, v43
	v_mul_f32_e32 v4, v6, v44
	v_fmac_f32_e32 v1, v2, v12
	v_mul_f32_e32 v2, v2, v13
	v_sub_f32_e32 v6, v47, v54
	v_mov_b32_e32 v10, v5
	v_add_f32_e32 v11, v47, v54
	v_fma_f32 v7, v7, v43, -v4
	v_fma_f32 v2, v3, v12, -v2
	v_mul_f32_e32 v3, v28, v15
	v_mul_f32_e32 v4, v27, v15
	v_fmac_f32_e32 v10, 0xbf5db3d7, v6
	v_fmac_f32_e32 v5, 0x3f5db3d7, v6
	v_add_f32_e32 v6, v32, v47
	v_fmac_f32_e32 v32, -0.5, v11
	v_fmac_f32_e32 v3, v27, v14
	v_fma_f32 v12, v28, v14, -v4
	v_sub_f32_e32 v11, v46, v53
	v_mov_b32_e32 v13, v32
	v_add_f32_e32 v14, v48, v55
	v_fmac_f32_e32 v13, 0x3f5db3d7, v11
	v_fmac_f32_e32 v32, 0xbf5db3d7, v11
	v_add_f32_e32 v11, v49, v48
	v_fmac_f32_e32 v49, -0.5, v14
	v_sub_f32_e32 v14, v50, v33
	v_mov_b32_e32 v15, v49
	v_add_f32_e32 v27, v50, v33
	v_fmac_f32_e32 v15, 0xbf5db3d7, v14
	v_fmac_f32_e32 v49, 0x3f5db3d7, v14
	v_add_f32_e32 v14, v45, v50
	v_fmac_f32_e32 v45, -0.5, v27
	v_sub_f32_e32 v27, v48, v55
	v_mov_b32_e32 v28, v45
	v_fmac_f32_e32 v45, 0xbf5db3d7, v27
	v_add_f32_e32 v4, v31, v46
	v_mul_f32_e32 v31, 0xbf5db3d7, v45
	v_fmac_f32_e32 v28, 0x3f5db3d7, v27
	v_fmac_f32_e32 v31, -0.5, v49
	v_add_f32_e32 v4, v4, v53
	v_add_f32_e32 v11, v11, v55
	v_mul_f32_e32 v27, 0xbf5db3d7, v28
	v_add_f32_e32 v43, v5, v31
	v_mul_f32_e32 v28, 0.5, v28
	v_sub_f32_e32 v31, v5, v31
	v_add_f32_e32 v5, v56, v1
	v_add_f32_e32 v6, v6, v54
	;; [unrolled: 1-line block ×4, first 2 shown]
	v_fmac_f32_e32 v27, 0.5, v15
	v_fmac_f32_e32 v28, 0x3f5db3d7, v15
	v_mul_f32_e32 v15, -0.5, v45
	v_sub_f32_e32 v45, v4, v11
	v_add_f32_e32 v4, v29, v56
	v_fmac_f32_e32 v29, -0.5, v5
	v_add_f32_e32 v34, v6, v14
	v_sub_f32_e32 v46, v6, v14
	v_sub_f32_e32 v6, v7, v2
	v_mov_b32_e32 v5, v29
	v_fmac_f32_e32 v5, 0xbf5db3d7, v6
	v_fmac_f32_e32 v29, 0x3f5db3d7, v6
	v_add_f32_e32 v6, v30, v7
	v_add_f32_e32 v6, v6, v2
	;; [unrolled: 1-line block ×3, first 2 shown]
	v_fmac_f32_e32 v30, -0.5, v2
	v_add_f32_e32 v4, v4, v1
	v_sub_f32_e32 v1, v56, v1
	v_mov_b32_e32 v7, v30
	v_fmac_f32_e32 v7, 0x3f5db3d7, v1
	v_fmac_f32_e32 v30, 0xbf5db3d7, v1
	v_add_f32_e32 v1, v51, v57
	v_add_f32_e32 v41, v10, v27
	v_sub_f32_e32 v47, v10, v27
	v_add_f32_e32 v10, v1, v3
	v_add_f32_e32 v1, v57, v3
	v_fmac_f32_e32 v51, -0.5, v1
	v_sub_f32_e32 v1, v0, v12
	v_mov_b32_e32 v2, v51
	v_fmac_f32_e32 v2, 0xbf5db3d7, v1
	v_fmac_f32_e32 v51, 0x3f5db3d7, v1
	v_add_f32_e32 v1, v52, v0
	v_add_f32_e32 v0, v0, v12
	v_fmac_f32_e32 v52, -0.5, v0
	v_add_f32_e32 v11, v1, v12
	v_sub_f32_e32 v0, v57, v3
	v_mov_b32_e32 v1, v52
	v_fmac_f32_e32 v15, 0x3f5db3d7, v49
	v_fmac_f32_e32 v1, 0x3f5db3d7, v0
	;; [unrolled: 1-line block ×3, first 2 shown]
	v_mov_b32_e32 v49, 0x5a0
	v_add_f32_e32 v42, v13, v28
	v_add_f32_e32 v44, v32, v15
	v_sub_f32_e32 v48, v13, v28
	v_sub_f32_e32 v32, v32, v15
	v_mul_f32_e32 v12, 0xbf5db3d7, v1
	v_mul_f32_e32 v13, 0xbf5db3d7, v52
	v_mul_f32_e32 v14, 0.5, v1
	v_mul_f32_e32 v15, -0.5, v52
	v_cndmask_b32_e64 v49, 0, v49, s[4:5]
	v_fmac_f32_e32 v12, 0.5, v2
	v_fmac_f32_e32 v13, -0.5, v51
	v_fmac_f32_e32 v14, 0x3f5db3d7, v2
	v_fmac_f32_e32 v15, 0x3f5db3d7, v51
	v_add_u32_e32 v49, 0, v49
	v_sub_f32_e32 v27, v4, v10
	v_sub_f32_e32 v0, v5, v12
	;; [unrolled: 1-line block ×6, first 2 shown]
	v_add3_u32 v36, v49, v36, v25
	ds_write2_b64 v36, v[33:34], v[41:42] offset1:30
	ds_write2_b64 v36, v[43:44], v[45:46] offset0:60 offset1:90
	ds_write2_b64 v36, v[47:48], v[31:32] offset0:120 offset1:150
	s_and_saveexec_b64 s[4:5], s[2:3]
	s_cbranch_execz .LBB0_19
; %bb.18:
	v_add_f32_e32 v11, v6, v11
	v_add_f32_e32 v6, v5, v12
	v_mov_b32_e32 v5, 3
	v_add_f32_e32 v10, v4, v10
	v_mad_u32_u24 v4, v8, s8, 0
	v_lshlrev_b32_sdwa v5, v5, v9 dst_sel:DWORD dst_unused:UNUSED_PAD src0_sel:DWORD src1_sel:BYTE_0
	v_add_f32_e32 v7, v7, v14
	v_add3_u32 v4, v4, v5, v25
	v_add_f32_e32 v15, v30, v15
	v_add_f32_e32 v14, v29, v13
	ds_write2_b64 v4, v[10:11], v[6:7] offset1:30
	ds_write2_b64 v4, v[14:15], v[27:28] offset0:60 offset1:90
	ds_write2_b64 v4, v[0:1], v[2:3] offset0:120 offset1:150
.LBB0_19:
	s_or_b64 exec, exec, s[4:5]
	v_add_u32_e32 v8, 0x800, v23
	s_waitcnt lgkmcnt(0)
	s_barrier
	ds_read2_b64 v[12:15], v23 offset0:180 offset1:234
	ds_read2_b64 v[4:7], v8 offset0:32 offset1:104
	;; [unrolled: 1-line block ×3, first 2 shown]
	ds_read_b64 v[33:34], v38
	ds_read_b64 v[31:32], v40
	;; [unrolled: 1-line block ×3, first 2 shown]
	s_and_saveexec_b64 s[2:3], s[0:1]
	s_cbranch_execz .LBB0_21
; %bb.20:
	v_add_u32_e32 v0, 0xa00, v23
	ds_read_b64 v[27:28], v35
	ds_read2_b64 v[0:3], v0 offset0:22 offset1:202
.LBB0_21:
	s_or_b64 exec, exec, s[2:3]
	v_lshlrev_b32_e32 v35, 1, v20
	v_mov_b32_e32 v36, 0
	v_lshlrev_b64 v[41:42], 3, v[35:36]
	v_lshlrev_b32_e32 v35, 1, v22
	v_mov_b32_e32 v25, s13
	v_add_co_u32_e64 v41, s[2:3], s12, v41
	v_lshlrev_b64 v[45:46], 3, v[35:36]
	v_addc_co_u32_e64 v42, s[2:3], v25, v42, s[2:3]
	v_lshlrev_b32_e32 v35, 1, v26
	v_add_co_u32_e64 v45, s[2:3], s12, v45
	v_lshlrev_b64 v[49:50], 3, v[35:36]
	v_addc_co_u32_e64 v46, s[2:3], v25, v46, s[2:3]
	global_load_dwordx4 v[41:44], v[41:42], off offset:1416
	v_add_co_u32_e64 v49, s[2:3], s12, v49
	global_load_dwordx4 v[45:48], v[45:46], off offset:1416
	v_addc_co_u32_e64 v50, s[2:3], v25, v50, s[2:3]
	global_load_dwordx4 v[49:52], v[49:50], off offset:1416
	s_waitcnt vmcnt(0) lgkmcnt(0)
	s_barrier
	v_mul_f32_e32 v25, v42, v13
	v_mul_f32_e32 v35, v42, v12
	;; [unrolled: 1-line block ×4, first 2 shown]
	v_fmac_f32_e32 v25, v41, v12
	v_fma_f32 v12, v41, v13, -v35
	v_fmac_f32_e32 v42, v43, v6
	v_fma_f32 v6, v43, v7, -v44
	v_mul_f32_e32 v7, v46, v15
	v_mul_f32_e32 v13, v46, v14
	;; [unrolled: 1-line block ×4, first 2 shown]
	v_fmac_f32_e32 v7, v45, v14
	v_fma_f32 v13, v45, v15, -v13
	v_fmac_f32_e32 v35, v47, v8
	v_fma_f32 v9, v47, v9, -v41
	v_mul_f32_e32 v14, v50, v5
	v_mul_f32_e32 v8, v50, v4
	;; [unrolled: 1-line block ×4, first 2 shown]
	v_add_f32_e32 v43, v33, v25
	v_add_f32_e32 v44, v25, v42
	v_sub_f32_e32 v45, v12, v6
	v_add_f32_e32 v46, v34, v12
	v_add_f32_e32 v12, v12, v6
	v_fmac_f32_e32 v14, v49, v4
	v_fma_f32 v47, v49, v5, -v8
	v_fmac_f32_e32 v15, v51, v10
	v_fma_f32 v41, v51, v11, -v41
	v_sub_f32_e32 v25, v25, v42
	v_add_f32_e32 v4, v43, v42
	v_fma_f32 v33, -0.5, v44, v33
	v_add_f32_e32 v5, v46, v6
	v_fmac_f32_e32 v34, -0.5, v12
	v_add_f32_e32 v10, v7, v35
	v_sub_f32_e32 v42, v13, v9
	v_add_f32_e32 v11, v32, v13
	v_add_f32_e32 v12, v13, v9
	;; [unrolled: 1-line block ×5, first 2 shown]
	v_sub_f32_e32 v43, v7, v35
	v_mov_b32_e32 v6, v33
	v_mov_b32_e32 v7, v34
	v_fma_f32 v31, -0.5, v10, v31
	v_fmac_f32_e32 v32, -0.5, v12
	v_add_f32_e32 v12, v29, v14
	v_add_f32_e32 v44, v30, v47
	v_fma_f32 v29, -0.5, v13, v29
	v_fmac_f32_e32 v30, -0.5, v46
	v_add_f32_e32 v8, v8, v35
	v_add_f32_e32 v9, v11, v9
	v_sub_f32_e32 v35, v47, v41
	v_sub_f32_e32 v47, v14, v15
	v_fmac_f32_e32 v6, 0xbf5db3d7, v45
	v_fmac_f32_e32 v7, 0x3f5db3d7, v25
	v_mov_b32_e32 v10, v31
	v_mov_b32_e32 v11, v32
	v_add_f32_e32 v12, v12, v15
	v_mov_b32_e32 v14, v29
	v_mov_b32_e32 v15, v30
	v_fmac_f32_e32 v33, 0x3f5db3d7, v45
	v_fmac_f32_e32 v34, 0xbf5db3d7, v25
	;; [unrolled: 1-line block ×4, first 2 shown]
	v_add_f32_e32 v13, v44, v41
	v_fmac_f32_e32 v10, 0xbf5db3d7, v42
	v_fmac_f32_e32 v11, 0x3f5db3d7, v43
	v_fmac_f32_e32 v29, 0x3f5db3d7, v35
	v_fmac_f32_e32 v14, 0xbf5db3d7, v35
	v_fmac_f32_e32 v15, 0x3f5db3d7, v47
	v_fmac_f32_e32 v30, 0xbf5db3d7, v47
	ds_write2_b64 v23, v[4:5], v[6:7] offset1:180
	ds_write_b64 v23, v[33:34] offset:2880
	ds_write2_b64 v40, v[8:9], v[10:11] offset1:180
	ds_write_b64 v40, v[31:32] offset:2880
	;; [unrolled: 2-line block ×3, first 2 shown]
	s_and_saveexec_b64 s[2:3], s[0:1]
	s_cbranch_execz .LBB0_23
; %bb.22:
	v_subrev_u32_e32 v4, 18, v20
	v_cndmask_b32_e64 v4, v4, v24, s[0:1]
	v_lshlrev_b32_e32 v35, 1, v4
	v_lshlrev_b64 v[4:5], 3, v[35:36]
	v_mov_b32_e32 v6, s13
	v_add_co_u32_e64 v4, s[0:1], s12, v4
	v_addc_co_u32_e64 v5, s[0:1], v6, v5, s[0:1]
	global_load_dwordx4 v[4:7], v[4:5], off offset:1416
	v_add_u32_e32 v8, 0x400, v23
	s_waitcnt vmcnt(0)
	v_mul_f32_e32 v9, v0, v5
	v_mul_f32_e32 v10, v2, v7
	;; [unrolled: 1-line block ×4, first 2 shown]
	v_fma_f32 v1, v1, v4, -v9
	v_fma_f32 v3, v3, v6, -v10
	v_fmac_f32_e32 v5, v0, v4
	v_fmac_f32_e32 v7, v2, v6
	v_add_f32_e32 v0, v1, v3
	v_add_f32_e32 v4, v5, v7
	v_sub_f32_e32 v6, v5, v7
	v_add_f32_e32 v2, v28, v1
	v_sub_f32_e32 v9, v1, v3
	v_add_f32_e32 v5, v27, v5
	v_fma_f32 v1, -0.5, v0, v28
	v_fma_f32 v0, -0.5, v4, v27
	v_add_f32_e32 v3, v2, v3
	v_add_f32_e32 v2, v5, v7
	v_mov_b32_e32 v5, v1
	v_fmac_f32_e32 v1, 0x3f5db3d7, v6
	v_mov_b32_e32 v4, v0
	v_fmac_f32_e32 v0, 0xbf5db3d7, v9
	v_fmac_f32_e32 v5, 0xbf5db3d7, v6
	;; [unrolled: 1-line block ×3, first 2 shown]
	ds_write2_b64 v8, v[2:3], v[0:1] offset0:34 offset1:214
	ds_write_b64 v23, v[4:5] offset:4176
.LBB0_23:
	s_or_b64 exec, exec, s[2:3]
	s_waitcnt lgkmcnt(0)
	s_barrier
	ds_read_b64 v[2:3], v38
	s_add_u32 s4, s12, 0x10c8
	s_addc_u32 s5, s13, 0
	v_sub_u32_e32 v4, v37, v21
	v_cmp_ne_u32_e64 s[0:1], 0, v20
                                        ; implicit-def: $vgpr6
                                        ; implicit-def: $vgpr5
                                        ; implicit-def: $vgpr0_vgpr1
	s_and_saveexec_b64 s[2:3], s[0:1]
	s_xor_b64 s[2:3], exec, s[2:3]
	s_cbranch_execz .LBB0_25
; %bb.24:
	v_mov_b32_e32 v21, 0
	v_lshlrev_b64 v[0:1], 3, v[20:21]
	v_mov_b32_e32 v5, s5
	v_add_co_u32_e64 v0, s[0:1], s4, v0
	v_addc_co_u32_e64 v1, s[0:1], v5, v1, s[0:1]
	global_load_dwordx2 v[0:1], v[0:1], off
	ds_read_b64 v[5:6], v4 offset:4320
	s_waitcnt lgkmcnt(0)
	v_add_f32_e32 v7, v5, v2
	v_add_f32_e32 v8, v6, v3
	v_sub_f32_e32 v2, v2, v5
	v_sub_f32_e32 v3, v3, v6
	v_mul_f32_e32 v6, 0.5, v8
	v_mul_f32_e32 v2, 0.5, v2
	;; [unrolled: 1-line block ×3, first 2 shown]
	s_waitcnt vmcnt(0)
	v_mul_f32_e32 v8, v1, v2
	v_fma_f32 v9, v6, v1, v3
	v_fma_f32 v1, v6, v1, -v3
	v_fma_f32 v5, 0.5, v7, v8
	v_fma_f32 v3, -v0, v2, v9
	v_fma_f32 v7, v7, 0.5, -v8
	v_fma_f32 v1, -v0, v2, v1
	v_fmac_f32_e32 v5, v0, v6
	ds_write_b32 v38, v3 offset:4
	v_fma_f32 v6, -v0, v6, v7
	ds_write_b32 v4, v1 offset:4324
	v_mov_b32_e32 v0, v20
	v_mov_b32_e32 v1, v21
                                        ; implicit-def: $vgpr2_vgpr3
.LBB0_25:
	s_andn2_saveexec_b64 s[0:1], s[2:3]
	s_cbranch_execz .LBB0_27
; %bb.26:
	v_mov_b32_e32 v0, 0
	ds_write_b32 v38, v0 offset:4
	ds_write_b32 v4, v0 offset:4324
	ds_read_b32 v0, v37 offset:2164
	s_waitcnt lgkmcnt(3)
	v_add_f32_e32 v5, v2, v3
	v_sub_f32_e32 v6, v2, v3
	s_waitcnt lgkmcnt(0)
	v_xor_b32_e32 v2, 0x80000000, v0
	v_mov_b32_e32 v0, 0
	v_mov_b32_e32 v1, 0
	ds_write_b32 v37, v2 offset:2164
.LBB0_27:
	s_or_b64 exec, exec, s[0:1]
	v_mov_b32_e32 v23, 0
	s_waitcnt lgkmcnt(0)
	v_lshlrev_b64 v[2:3], 3, v[22:23]
	v_mov_b32_e32 v7, s5
	v_add_co_u32_e64 v2, s[0:1], s4, v2
	v_addc_co_u32_e64 v3, s[0:1], v7, v3, s[0:1]
	global_load_dwordx2 v[2:3], v[2:3], off
	v_mov_b32_e32 v27, v23
	v_lshlrev_b64 v[7:8], 3, v[26:27]
	v_mov_b32_e32 v9, s5
	v_add_co_u32_e64 v7, s[0:1], s4, v7
	v_addc_co_u32_e64 v8, s[0:1], v9, v8, s[0:1]
	global_load_dwordx2 v[7:8], v[7:8], off
	v_mov_b32_e32 v25, v23
	v_lshlrev_b64 v[9:10], 3, v[24:25]
	v_mov_b32_e32 v11, s5
	v_add_co_u32_e64 v9, s[0:1], s4, v9
	v_addc_co_u32_e64 v10, s[0:1], v11, v10, s[0:1]
	global_load_dwordx2 v[9:10], v[9:10], off
	v_lshlrev_b64 v[0:1], 3, v[0:1]
	v_mov_b32_e32 v15, s5
	v_add_co_u32_e64 v0, s[0:1], s4, v0
	ds_write_b32 v38, v5
	ds_write_b32 v4, v6 offset:4320
	v_lshl_add_u32 v13, v22, 3, v37
	v_addc_co_u32_e64 v1, s[0:1], v15, v1, s[0:1]
	ds_read_b64 v[5:6], v13
	ds_read_b64 v[11:12], v4 offset:3888
	global_load_dwordx2 v[0:1], v[0:1], off offset:1728
	v_lshl_add_u32 v14, v26, 3, v37
	s_waitcnt lgkmcnt(0)
	v_add_f32_e32 v15, v5, v11
	v_sub_f32_e32 v5, v5, v11
	v_add_f32_e32 v21, v6, v12
	v_sub_f32_e32 v6, v6, v12
	v_mul_f32_e32 v5, 0.5, v5
	v_mul_f32_e32 v11, 0.5, v21
	;; [unrolled: 1-line block ×3, first 2 shown]
	s_waitcnt vmcnt(3)
	v_mul_f32_e32 v12, v3, v5
	v_fma_f32 v21, v11, v3, v6
	v_fma_f32 v3, v11, v3, -v6
	v_fma_f32 v6, 0.5, v15, v12
	v_fma_f32 v21, -v2, v5, v21
	v_fma_f32 v12, v15, 0.5, -v12
	v_fmac_f32_e32 v6, v2, v11
	v_fma_f32 v3, -v2, v5, v3
	v_fma_f32 v2, -v2, v11, v12
	ds_write2_b32 v13, v6, v21 offset1:1
	ds_write_b64 v4, v[2:3] offset:3888
	ds_read_b64 v[2:3], v14
	ds_read_b64 v[5:6], v4 offset:3456
	v_lshl_add_u32 v11, v24, 3, v37
	s_waitcnt lgkmcnt(0)
	v_add_f32_e32 v12, v2, v5
	v_sub_f32_e32 v2, v2, v5
	v_add_f32_e32 v13, v3, v6
	v_sub_f32_e32 v3, v3, v6
	v_mul_f32_e32 v2, 0.5, v2
	v_mul_f32_e32 v5, 0.5, v13
	;; [unrolled: 1-line block ×3, first 2 shown]
	s_waitcnt vmcnt(2)
	v_mul_f32_e32 v6, v8, v2
	v_fma_f32 v13, v5, v8, v3
	v_fma_f32 v3, v5, v8, -v3
	v_fma_f32 v8, 0.5, v12, v6
	v_fma_f32 v13, -v7, v2, v13
	v_fma_f32 v6, v12, 0.5, -v6
	v_fmac_f32_e32 v8, v7, v5
	v_fma_f32 v3, -v7, v2, v3
	v_fma_f32 v2, -v7, v5, v6
	ds_write2_b32 v14, v8, v13 offset1:1
	ds_write_b64 v4, v[2:3] offset:3456
	ds_read_b64 v[2:3], v11
	ds_read_b64 v[5:6], v4 offset:3024
	s_waitcnt lgkmcnt(0)
	v_add_f32_e32 v7, v2, v5
	v_sub_f32_e32 v2, v2, v5
	v_add_f32_e32 v8, v3, v6
	v_sub_f32_e32 v3, v3, v6
	v_mul_f32_e32 v2, 0.5, v2
	v_mul_f32_e32 v5, 0.5, v8
	;; [unrolled: 1-line block ×3, first 2 shown]
	s_waitcnt vmcnt(1)
	v_mul_f32_e32 v6, v10, v2
	v_fma_f32 v8, v5, v10, v3
	v_fma_f32 v3, v5, v10, -v3
	v_fma_f32 v10, 0.5, v7, v6
	v_fma_f32 v8, -v9, v2, v8
	v_fma_f32 v6, v7, 0.5, -v6
	v_fmac_f32_e32 v10, v9, v5
	v_fma_f32 v3, -v9, v2, v3
	v_fma_f32 v2, -v9, v5, v6
	ds_write2_b32 v11, v10, v8 offset1:1
	ds_write_b64 v4, v[2:3] offset:3024
	ds_read_b64 v[2:3], v38 offset:1728
	ds_read_b64 v[5:6], v4 offset:2592
	v_add_u32_e32 v7, 0x400, v38
	s_waitcnt lgkmcnt(0)
	v_add_f32_e32 v8, v2, v5
	v_sub_f32_e32 v2, v2, v5
	v_add_f32_e32 v9, v3, v6
	v_sub_f32_e32 v3, v3, v6
	v_mul_f32_e32 v2, 0.5, v2
	v_mul_f32_e32 v5, 0.5, v9
	;; [unrolled: 1-line block ×3, first 2 shown]
	s_waitcnt vmcnt(0)
	v_mul_f32_e32 v6, v1, v2
	v_fma_f32 v9, v5, v1, v3
	v_fma_f32 v1, v5, v1, -v3
	v_fma_f32 v3, 0.5, v8, v6
	v_fma_f32 v9, -v0, v2, v9
	v_fma_f32 v6, v8, 0.5, -v6
	v_fmac_f32_e32 v3, v0, v5
	v_fma_f32 v1, -v0, v2, v1
	v_fma_f32 v0, -v0, v5, v6
	ds_write2_b32 v7, v3, v9 offset0:176 offset1:177
	ds_write_b64 v4, v[0:1] offset:2592
	s_waitcnt lgkmcnt(0)
	s_barrier
	s_and_saveexec_b64 s[0:1], vcc
	s_cbranch_execz .LBB0_30
; %bb.28:
	v_mul_lo_u32 v0, s7, v18
	v_mul_lo_u32 v3, s6, v19
	v_mad_u64_u32 v[1:2], s[0:1], s6, v18, 0
	v_mov_b32_e32 v7, s11
	v_mov_b32_e32 v21, v23
	v_add3_u32 v2, v2, v3, v0
	v_lshlrev_b64 v[1:2], 3, v[1:2]
	v_lshl_add_u32 v0, v20, 3, v37
	v_add_co_u32_e32 v1, vcc, s10, v1
	v_addc_co_u32_e32 v9, vcc, v7, v2, vcc
	v_lshlrev_b64 v[7:8], 3, v[16:17]
	ds_read2_b64 v[3:6], v0 offset1:54
	v_add_co_u32_e32 v2, vcc, v1, v7
	v_addc_co_u32_e32 v1, vcc, v9, v8, vcc
	v_lshlrev_b64 v[7:8], 3, v[20:21]
	v_add_u32_e32 v22, 54, v20
	v_add_co_u32_e32 v7, vcc, v2, v7
	v_addc_co_u32_e32 v8, vcc, v1, v8, vcc
	s_waitcnt lgkmcnt(0)
	global_store_dwordx2 v[7:8], v[3:4], off
	v_lshlrev_b64 v[3:4], 3, v[22:23]
	v_add_u32_e32 v22, 0x6c, v20
	v_add_co_u32_e32 v3, vcc, v2, v3
	v_addc_co_u32_e32 v4, vcc, v1, v4, vcc
	global_store_dwordx2 v[3:4], v[5:6], off
	ds_read2_b64 v[3:6], v0 offset0:108 offset1:162
	v_lshlrev_b64 v[7:8], 3, v[22:23]
	v_add_u32_e32 v22, 0xa2, v20
	v_add_co_u32_e32 v7, vcc, v2, v7
	v_addc_co_u32_e32 v8, vcc, v1, v8, vcc
	s_waitcnt lgkmcnt(0)
	global_store_dwordx2 v[7:8], v[3:4], off
	v_lshlrev_b64 v[3:4], 3, v[22:23]
	v_add_u32_e32 v22, 0xd8, v20
	v_add_co_u32_e32 v3, vcc, v2, v3
	v_addc_co_u32_e32 v4, vcc, v1, v4, vcc
	global_store_dwordx2 v[3:4], v[5:6], off
	v_add_u32_e32 v3, 0x400, v0
	ds_read2_b64 v[3:6], v3 offset0:88 offset1:142
	v_lshlrev_b64 v[7:8], 3, v[22:23]
	v_add_u32_e32 v22, 0x10e, v20
	v_add_co_u32_e32 v7, vcc, v2, v7
	v_addc_co_u32_e32 v8, vcc, v1, v8, vcc
	s_waitcnt lgkmcnt(0)
	global_store_dwordx2 v[7:8], v[3:4], off
	v_lshlrev_b64 v[3:4], 3, v[22:23]
	v_add_u32_e32 v9, 0x800, v0
	v_add_co_u32_e32 v3, vcc, v2, v3
	v_addc_co_u32_e32 v4, vcc, v1, v4, vcc
	global_store_dwordx2 v[3:4], v[5:6], off
	v_add_u32_e32 v22, 0x144, v20
	ds_read2_b64 v[3:6], v9 offset0:68 offset1:122
	v_lshlrev_b64 v[7:8], 3, v[22:23]
	v_add_u32_e32 v22, 0x17a, v20
	v_add_co_u32_e32 v7, vcc, v2, v7
	v_addc_co_u32_e32 v8, vcc, v1, v8, vcc
	s_waitcnt lgkmcnt(0)
	global_store_dwordx2 v[7:8], v[3:4], off
	v_lshlrev_b64 v[3:4], 3, v[22:23]
	v_add_u32_e32 v22, 0x1b0, v20
	v_add_co_u32_e32 v3, vcc, v2, v3
	v_addc_co_u32_e32 v4, vcc, v1, v4, vcc
	global_store_dwordx2 v[3:4], v[5:6], off
	ds_read2_b64 v[3:6], v9 offset0:176 offset1:230
	v_lshlrev_b64 v[7:8], 3, v[22:23]
	v_add_u32_e32 v22, 0x1e6, v20
	v_add_co_u32_e32 v7, vcc, v2, v7
	v_addc_co_u32_e32 v8, vcc, v1, v8, vcc
	s_waitcnt lgkmcnt(0)
	global_store_dwordx2 v[7:8], v[3:4], off
	v_lshlrev_b64 v[3:4], 3, v[22:23]
	v_add_co_u32_e32 v3, vcc, v2, v3
	v_addc_co_u32_e32 v4, vcc, v1, v4, vcc
	v_cmp_eq_u32_e32 vcc, 53, v20
	global_store_dwordx2 v[3:4], v[5:6], off
	s_and_b64 exec, exec, vcc
	s_cbranch_execz .LBB0_30
; %bb.29:
	ds_read_b64 v[3:4], v0 offset:3896
	v_add_co_u32_e32 v0, vcc, 0x1000, v2
	v_addc_co_u32_e32 v1, vcc, 0, v1, vcc
	s_waitcnt lgkmcnt(0)
	global_store_dwordx2 v[0:1], v[3:4], off offset:224
.LBB0_30:
	s_endpgm
	.section	.rodata,"a",@progbits
	.p2align	6, 0x0
	.amdhsa_kernel fft_rtc_back_len540_factors_3_10_6_3_wgs_216_tpt_54_halfLds_sp_op_CI_CI_unitstride_sbrr_R2C_dirReg
		.amdhsa_group_segment_fixed_size 0
		.amdhsa_private_segment_fixed_size 0
		.amdhsa_kernarg_size 104
		.amdhsa_user_sgpr_count 6
		.amdhsa_user_sgpr_private_segment_buffer 1
		.amdhsa_user_sgpr_dispatch_ptr 0
		.amdhsa_user_sgpr_queue_ptr 0
		.amdhsa_user_sgpr_kernarg_segment_ptr 1
		.amdhsa_user_sgpr_dispatch_id 0
		.amdhsa_user_sgpr_flat_scratch_init 0
		.amdhsa_user_sgpr_private_segment_size 0
		.amdhsa_uses_dynamic_stack 0
		.amdhsa_system_sgpr_private_segment_wavefront_offset 0
		.amdhsa_system_sgpr_workgroup_id_x 1
		.amdhsa_system_sgpr_workgroup_id_y 0
		.amdhsa_system_sgpr_workgroup_id_z 0
		.amdhsa_system_sgpr_workgroup_info 0
		.amdhsa_system_vgpr_workitem_id 0
		.amdhsa_next_free_vgpr 61
		.amdhsa_next_free_sgpr 28
		.amdhsa_reserve_vcc 1
		.amdhsa_reserve_flat_scratch 0
		.amdhsa_float_round_mode_32 0
		.amdhsa_float_round_mode_16_64 0
		.amdhsa_float_denorm_mode_32 3
		.amdhsa_float_denorm_mode_16_64 3
		.amdhsa_dx10_clamp 1
		.amdhsa_ieee_mode 1
		.amdhsa_fp16_overflow 0
		.amdhsa_exception_fp_ieee_invalid_op 0
		.amdhsa_exception_fp_denorm_src 0
		.amdhsa_exception_fp_ieee_div_zero 0
		.amdhsa_exception_fp_ieee_overflow 0
		.amdhsa_exception_fp_ieee_underflow 0
		.amdhsa_exception_fp_ieee_inexact 0
		.amdhsa_exception_int_div_zero 0
	.end_amdhsa_kernel
	.text
.Lfunc_end0:
	.size	fft_rtc_back_len540_factors_3_10_6_3_wgs_216_tpt_54_halfLds_sp_op_CI_CI_unitstride_sbrr_R2C_dirReg, .Lfunc_end0-fft_rtc_back_len540_factors_3_10_6_3_wgs_216_tpt_54_halfLds_sp_op_CI_CI_unitstride_sbrr_R2C_dirReg
                                        ; -- End function
	.section	.AMDGPU.csdata,"",@progbits
; Kernel info:
; codeLenInByte = 7040
; NumSgprs: 32
; NumVgprs: 61
; ScratchSize: 0
; MemoryBound: 0
; FloatMode: 240
; IeeeMode: 1
; LDSByteSize: 0 bytes/workgroup (compile time only)
; SGPRBlocks: 3
; VGPRBlocks: 15
; NumSGPRsForWavesPerEU: 32
; NumVGPRsForWavesPerEU: 61
; Occupancy: 4
; WaveLimiterHint : 1
; COMPUTE_PGM_RSRC2:SCRATCH_EN: 0
; COMPUTE_PGM_RSRC2:USER_SGPR: 6
; COMPUTE_PGM_RSRC2:TRAP_HANDLER: 0
; COMPUTE_PGM_RSRC2:TGID_X_EN: 1
; COMPUTE_PGM_RSRC2:TGID_Y_EN: 0
; COMPUTE_PGM_RSRC2:TGID_Z_EN: 0
; COMPUTE_PGM_RSRC2:TIDIG_COMP_CNT: 0
	.type	__hip_cuid_d92fcd76af40296e,@object ; @__hip_cuid_d92fcd76af40296e
	.section	.bss,"aw",@nobits
	.globl	__hip_cuid_d92fcd76af40296e
__hip_cuid_d92fcd76af40296e:
	.byte	0                               ; 0x0
	.size	__hip_cuid_d92fcd76af40296e, 1

	.ident	"AMD clang version 19.0.0git (https://github.com/RadeonOpenCompute/llvm-project roc-6.4.0 25133 c7fe45cf4b819c5991fe208aaa96edf142730f1d)"
	.section	".note.GNU-stack","",@progbits
	.addrsig
	.addrsig_sym __hip_cuid_d92fcd76af40296e
	.amdgpu_metadata
---
amdhsa.kernels:
  - .args:
      - .actual_access:  read_only
        .address_space:  global
        .offset:         0
        .size:           8
        .value_kind:     global_buffer
      - .offset:         8
        .size:           8
        .value_kind:     by_value
      - .actual_access:  read_only
        .address_space:  global
        .offset:         16
        .size:           8
        .value_kind:     global_buffer
      - .actual_access:  read_only
        .address_space:  global
        .offset:         24
        .size:           8
        .value_kind:     global_buffer
      - .actual_access:  read_only
        .address_space:  global
        .offset:         32
        .size:           8
        .value_kind:     global_buffer
      - .offset:         40
        .size:           8
        .value_kind:     by_value
      - .actual_access:  read_only
        .address_space:  global
        .offset:         48
        .size:           8
        .value_kind:     global_buffer
      - .actual_access:  read_only
        .address_space:  global
        .offset:         56
        .size:           8
        .value_kind:     global_buffer
      - .offset:         64
        .size:           4
        .value_kind:     by_value
      - .actual_access:  read_only
        .address_space:  global
        .offset:         72
        .size:           8
        .value_kind:     global_buffer
      - .actual_access:  read_only
        .address_space:  global
        .offset:         80
        .size:           8
        .value_kind:     global_buffer
      - .actual_access:  read_only
        .address_space:  global
        .offset:         88
        .size:           8
        .value_kind:     global_buffer
      - .actual_access:  write_only
        .address_space:  global
        .offset:         96
        .size:           8
        .value_kind:     global_buffer
    .group_segment_fixed_size: 0
    .kernarg_segment_align: 8
    .kernarg_segment_size: 104
    .language:       OpenCL C
    .language_version:
      - 2
      - 0
    .max_flat_workgroup_size: 216
    .name:           fft_rtc_back_len540_factors_3_10_6_3_wgs_216_tpt_54_halfLds_sp_op_CI_CI_unitstride_sbrr_R2C_dirReg
    .private_segment_fixed_size: 0
    .sgpr_count:     32
    .sgpr_spill_count: 0
    .symbol:         fft_rtc_back_len540_factors_3_10_6_3_wgs_216_tpt_54_halfLds_sp_op_CI_CI_unitstride_sbrr_R2C_dirReg.kd
    .uniform_work_group_size: 1
    .uses_dynamic_stack: false
    .vgpr_count:     61
    .vgpr_spill_count: 0
    .wavefront_size: 64
amdhsa.target:   amdgcn-amd-amdhsa--gfx906
amdhsa.version:
  - 1
  - 2
...

	.end_amdgpu_metadata
